;; amdgpu-corpus repo=ROCm/rocFFT kind=compiled arch=gfx950 opt=O3
	.text
	.amdgcn_target "amdgcn-amd-amdhsa--gfx950"
	.amdhsa_code_object_version 6
	.protected	bluestein_single_fwd_len105_dim1_sp_op_CI_CI ; -- Begin function bluestein_single_fwd_len105_dim1_sp_op_CI_CI
	.globl	bluestein_single_fwd_len105_dim1_sp_op_CI_CI
	.p2align	8
	.type	bluestein_single_fwd_len105_dim1_sp_op_CI_CI,@function
bluestein_single_fwd_len105_dim1_sp_op_CI_CI: ; @bluestein_single_fwd_len105_dim1_sp_op_CI_CI
; %bb.0:
	s_load_dwordx4 s[8:11], s[0:1], 0x28
	v_mul_u32_u24_e32 v1, 0xc31, v0
	v_lshrrev_b32_e32 v2, 16, v1
	v_mad_u64_u32 v[28:29], s[2:3], s2, 12, v[2:3]
	v_mov_b32_e32 v29, 0
	s_waitcnt lgkmcnt(0)
	v_cmp_gt_u64_e32 vcc, s[8:9], v[28:29]
	s_and_saveexec_b64 s[2:3], vcc
	s_cbranch_execz .LBB0_23
; %bb.1:
	v_mul_lo_u16_e32 v1, 21, v2
	s_mov_b32 s2, 0xaaaaaaab
	v_sub_u16_e32 v29, v0, v1
	v_mul_hi_u32 v0, v28, s2
	s_load_dwordx2 s[8:9], s[0:1], 0x0
	s_load_dwordx2 s[12:13], s[0:1], 0x38
	v_lshrrev_b32_e32 v0, 3, v0
	v_mul_lo_u32 v0, v0, 12
	v_sub_u32_e32 v0, v28, v0
	v_mul_u32_u24_e32 v26, 0x69, v0
	v_cmp_gt_u16_e32 vcc, 15, v29
	v_lshlrev_b32_e32 v42, 3, v29
	v_lshlrev_b32_e32 v43, 3, v26
	s_and_saveexec_b64 s[2:3], vcc
	s_cbranch_execz .LBB0_3
; %bb.2:
	s_load_dwordx2 s[4:5], s[0:1], 0x18
	v_mov_b32_e32 v0, s10
	v_mov_b32_e32 v1, s11
	;; [unrolled: 1-line block ×3, first 2 shown]
	v_add_u32_e32 v34, v43, v42
	s_waitcnt lgkmcnt(0)
	s_load_dwordx4 s[4:7], s[4:5], 0x0
	s_waitcnt lgkmcnt(0)
	v_mad_u64_u32 v[2:3], s[10:11], s6, v28, 0
	v_mad_u64_u32 v[4:5], s[10:11], s4, v29, 0
	v_mov_b32_e32 v6, v3
	v_mov_b32_e32 v8, v5
	v_mad_u64_u32 v[6:7], s[6:7], s7, v28, v[6:7]
	v_mov_b32_e32 v3, v6
	v_mad_u64_u32 v[6:7], s[6:7], s5, v29, v[8:9]
	v_mov_b32_e32 v5, v6
	v_lshl_add_u64 v[0:1], v[2:3], 3, v[0:1]
	v_lshl_add_u64 v[0:1], v[4:5], 3, v[0:1]
	global_load_dwordx2 v[2:3], v[0:1], off
	v_mad_u64_u32 v[0:1], s[6:7], s4, v27, v[0:1]
	s_mul_i32 s10, s5, 0x78
	v_add_u32_e32 v1, s10, v1
	v_mad_u64_u32 v[8:9], s[6:7], s4, v27, v[0:1]
	v_add_u32_e32 v9, s10, v9
	global_load_dwordx2 v[4:5], v42, s[8:9]
	global_load_dwordx2 v[6:7], v42, s[8:9] offset:120
	global_load_dwordx2 v[10:11], v[0:1], off
	global_load_dwordx2 v[12:13], v[8:9], off
	v_mad_u64_u32 v[0:1], s[6:7], s4, v27, v[8:9]
	v_add_u32_e32 v1, s10, v1
	global_load_dwordx2 v[8:9], v42, s[8:9] offset:240
	global_load_dwordx2 v[14:15], v42, s[8:9] offset:360
	v_mad_u64_u32 v[16:17], s[6:7], s4, v27, v[0:1]
	v_add_u32_e32 v17, s10, v17
	global_load_dwordx2 v[0:1], v[0:1], off
	s_nop 0
	global_load_dwordx2 v[18:19], v[16:17], off
	global_load_dwordx2 v[20:21], v42, s[8:9] offset:480
	v_mad_u64_u32 v[16:17], s[6:7], s4, v27, v[16:17]
	v_add_u32_e32 v17, s10, v17
	global_load_dwordx2 v[22:23], v[16:17], off
	global_load_dwordx2 v[24:25], v42, s[8:9] offset:600
	v_mad_u64_u32 v[16:17], s[4:5], s4, v27, v[16:17]
	v_add_u32_e32 v17, s10, v17
	global_load_dwordx2 v[30:31], v42, s[8:9] offset:720
	global_load_dwordx2 v[32:33], v[16:17], off
	v_lshl_add_u32 v27, v29, 3, v43
	s_waitcnt vmcnt(12)
	v_mul_f32_e32 v16, v3, v5
	v_mul_f32_e32 v5, v2, v5
	v_fmac_f32_e32 v16, v2, v4
	v_fma_f32 v17, v3, v4, -v5
	s_waitcnt vmcnt(10)
	v_mul_f32_e32 v2, v11, v7
	v_mul_f32_e32 v3, v10, v7
	s_waitcnt vmcnt(8)
	v_mul_f32_e32 v4, v13, v9
	v_mul_f32_e32 v5, v12, v9
	v_fmac_f32_e32 v2, v10, v6
	v_fma_f32 v3, v11, v6, -v3
	v_fmac_f32_e32 v4, v12, v8
	v_fma_f32 v5, v13, v8, -v5
	ds_write_b64 v27, v[16:17]
	ds_write2_b64 v34, v[2:3], v[4:5] offset0:15 offset1:30
	s_waitcnt vmcnt(6)
	v_mul_f32_e32 v2, v1, v15
	v_mul_f32_e32 v3, v0, v15
	v_fmac_f32_e32 v2, v0, v14
	v_fma_f32 v3, v1, v14, -v3
	s_waitcnt vmcnt(4)
	v_mul_f32_e32 v0, v19, v21
	v_mul_f32_e32 v1, v18, v21
	v_fmac_f32_e32 v0, v18, v20
	v_fma_f32 v1, v19, v20, -v1
	ds_write2_b64 v34, v[2:3], v[0:1] offset0:45 offset1:60
	s_waitcnt vmcnt(2)
	v_mul_f32_e32 v0, v23, v25
	v_mul_f32_e32 v1, v22, v25
	s_waitcnt vmcnt(0)
	v_mul_f32_e32 v2, v33, v31
	v_mul_f32_e32 v3, v32, v31
	v_fmac_f32_e32 v0, v22, v24
	v_fma_f32 v1, v23, v24, -v1
	v_fmac_f32_e32 v2, v32, v30
	v_fma_f32 v3, v33, v30, -v3
	ds_write2_b64 v34, v[0:1], v[2:3] offset0:75 offset1:90
.LBB0_3:
	s_or_b64 exec, exec, s[2:3]
	v_mov_b64_e32 v[2:3], 0
	v_mov_b64_e32 v[4:5], v[2:3]
	v_mov_b64_e32 v[8:9], v[2:3]
	v_mov_b64_e32 v[0:1], v[2:3]
	s_waitcnt lgkmcnt(0)
	s_barrier
	s_waitcnt lgkmcnt(0)
                                        ; implicit-def: $vgpr12
	s_and_saveexec_b64 s[2:3], vcc
	s_cbranch_execz .LBB0_5
; %bb.4:
	v_lshl_add_u32 v12, v26, 3, v42
	ds_read2_b64 v[0:3], v12 offset1:15
	ds_read2_b64 v[4:7], v12 offset0:30 offset1:45
	ds_read2_b64 v[8:11], v12 offset0:60 offset1:75
	ds_read_b64 v[12:13], v12 offset:720
.LBB0_5:
	s_or_b64 exec, exec, s[2:3]
	s_waitcnt lgkmcnt(0)
	v_pk_add_f32 v[14:15], v[12:13], v[2:3]
	v_pk_add_f32 v[2:3], v[2:3], v[12:13] neg_lo:[0,1] neg_hi:[0,1]
	v_pk_add_f32 v[12:13], v[10:11], v[4:5]
	v_pk_add_f32 v[4:5], v[4:5], v[10:11] neg_lo:[0,1] neg_hi:[0,1]
	;; [unrolled: 2-line block ×5, first 2 shown]
	v_pk_add_f32 v[20:21], v[6:7], v[4:5] op_sel:[1,1] op_sel_hi:[0,0] neg_lo:[0,1] neg_hi:[0,1]
	v_pk_add_f32 v[0:1], v[8:9], v[0:1]
	s_mov_b32 s2, 0xbf955555
	s_mov_b32 s4, 0x3d64c772
	;; [unrolled: 1-line block ×3, first 2 shown]
	v_pk_add_f32 v[18:19], v[4:5], v[6:7] op_sel:[1,1] op_sel_hi:[0,0]
	v_pk_add_f32 v[4:5], v[4:5], v[2:3] op_sel:[1,1] op_sel_hi:[0,0] neg_lo:[0,1] neg_hi:[0,1]
	v_pk_mul_f32 v[12:13], v[12:13], s[4:5] op_sel_hi:[1,0]
	s_mov_b32 s4, 0x3f3bfb3b
	v_pk_mul_f32 v[20:21], v[20:21], s[10:11] op_sel_hi:[1,0]
	s_mov_b32 s10, 0x3f5ff5aa
	v_pk_fma_f32 v[8:9], v[8:9], s[2:3], v[0:1] op_sel_hi:[1,0,1]
	v_pk_add_f32 v[10:11], v[14:15], v[10:11] neg_lo:[0,1] neg_hi:[0,1]
	s_mov_b32 s2, 0x3f4a47b2
	v_pk_add_f32 v[18:19], v[2:3], v[18:19] op_sel:[1,0] op_sel_hi:[0,1]
	s_mov_b32 s6, 0x3ee1c552
	v_pk_mul_f32 v[22:23], v[4:5], s[10:11] op_sel_hi:[1,0]
	v_pk_fma_f32 v[24:25], v[16:17], s[4:5], v[12:13] op_sel_hi:[1,0,1] neg_lo:[0,0,1] neg_hi:[0,0,1]
	v_pk_fma_f32 v[4:5], v[4:5], s[10:11], v[20:21] op_sel_hi:[1,0,1] neg_lo:[0,0,1] neg_hi:[0,0,1]
	v_pk_add_f32 v[2:3], v[2:3], v[6:7] op_sel:[1,1] op_sel_hi:[0,0] neg_lo:[0,1] neg_hi:[0,1]
	v_pk_mul_f32 v[6:7], v[10:11], s[2:3] op_sel_hi:[1,0]
	s_mov_b32 s10, 0x3eae86e6
	v_pk_add_f32 v[24:25], v[24:25], v[8:9]
	v_pk_fma_f32 v[10:11], v[10:11], s[2:3], v[12:13] op_sel_hi:[1,0,1]
	v_pk_fma_f32 v[12:13], v[2:3], s[10:11], v[20:21] op_sel_hi:[1,0,1]
	;; [unrolled: 1-line block ×3, first 2 shown]
	v_pk_fma_f32 v[4:5], v[16:17], s[4:5], v[6:7] op_sel_hi:[1,0,1] neg_lo:[1,0,1] neg_hi:[1,0,1]
	v_pk_fma_f32 v[6:7], v[2:3], s[10:11], v[22:23] op_sel_hi:[1,0,1] neg_lo:[1,0,1] neg_hi:[1,0,1]
	v_pk_fma_f32 v[20:21], v[18:19], s[6:7], v[12:13] op_sel_hi:[1,0,1]
	v_pk_add_f32 v[2:3], v[4:5], v[8:9]
	v_pk_fma_f32 v[4:5], v[18:19], s[6:7], v[6:7] op_sel_hi:[1,0,1]
	v_pk_add_f32 v[12:13], v[24:25], v[30:31] neg_lo:[0,1] neg_hi:[0,1]
	v_pk_add_f32 v[6:7], v[24:25], v[30:31]
	v_pk_add_f32 v[10:11], v[10:11], v[8:9]
	v_mov_b32_e32 v13, v7
	v_mov_b32_e32 v6, v25
	;; [unrolled: 1-line block ×5, first 2 shown]
	v_pk_add_f32 v[14:15], v[6:7], v[8:9] neg_lo:[0,1] neg_hi:[0,1]
	v_mov_b32_e32 v6, v5
	v_mov_b32_e32 v7, v24
	;; [unrolled: 1-line block ×4, first 2 shown]
	v_pk_add_f32 v[16:17], v[6:7], v[8:9]
	v_pk_add_f32 v[6:7], v[10:11], v[20:21] neg_lo:[0,1] neg_hi:[0,1]
	v_pk_add_f32 v[8:9], v[10:11], v[20:21]
	v_mov_b32_e32 v18, v6
	v_mov_b32_e32 v19, v9
	v_mul_lo_u16_e32 v47, 7, v29
	s_barrier
	s_and_saveexec_b64 s[2:3], vcc
	s_cbranch_execz .LBB0_7
; %bb.6:
	v_pk_add_f32 v[10:11], v[2:3], v[4:5]
	v_pk_add_f32 v[2:3], v[2:3], v[4:5] neg_lo:[0,1] neg_hi:[0,1]
	v_add_lshl_u32 v4, v26, v47, 3
	v_mov_b32_e32 v9, v7
	ds_write2_b64 v4, v[0:1], v[8:9] offset1:1
	v_mov_b32_e32 v11, v3
	v_mov_b32_e32 v0, v17
	;; [unrolled: 1-line block ×5, first 2 shown]
	ds_write2_b64 v4, v[10:11], v[12:13] offset0:2 offset1:3
	ds_write2_b64 v4, v[0:1], v[2:3] offset0:4 offset1:5
	ds_write_b64 v4, v[18:19] offset:48
.LBB0_7:
	s_or_b64 exec, exec, s[2:3]
	v_add_lshl_u32 v45, v26, v29, 3
	s_load_dwordx2 s[4:5], s[0:1], 0x20
	s_load_dwordx2 s[10:11], s[0:1], 0x8
	s_waitcnt lgkmcnt(0)
	s_barrier
	ds_read2_b64 v[8:11], v45 offset1:35
	ds_read_b64 v[20:21], v45 offset:560
	v_cmp_gt_u16_e64 s[0:1], 14, v29
	v_cmp_lt_u16_e64 s[2:3], 13, v29
	s_and_saveexec_b64 s[6:7], s[2:3]
	s_xor_b64 s[6:7], exec, s[6:7]
	s_andn2_saveexec_b64 s[6:7], s[6:7]
	s_cbranch_execz .LBB0_9
; %bb.8:
	ds_read_b64 v[4:5], v45 offset:728
	ds_read2_b64 v[0:3], v45 offset0:21 offset1:56
	s_waitcnt lgkmcnt(1)
	v_mov_b32_e32 v16, v5
	s_waitcnt lgkmcnt(0)
	v_mov_b32_e32 v17, v2
	v_mov_b32_e32 v14, v3
	;; [unrolled: 1-line block ×5, first 2 shown]
.LBB0_9:
	s_or_b64 exec, exec, s[6:7]
	v_mov_b32_e32 v0, 37
	v_mul_lo_u16_sdwa v1, v29, v0 dst_sel:DWORD dst_unused:UNUSED_PAD src0_sel:BYTE_0 src1_sel:DWORD
	v_sub_u16_sdwa v2, v29, v1 dst_sel:DWORD dst_unused:UNUSED_PAD src0_sel:DWORD src1_sel:BYTE_1
	v_lshrrev_b16_e32 v2, 1, v2
	v_and_b32_e32 v2, 0x7f, v2
	v_add_u16_sdwa v1, v2, v1 dst_sel:DWORD dst_unused:UNUSED_PAD src0_sel:DWORD src1_sel:BYTE_1
	v_lshrrev_b16_e32 v22, 2, v1
	v_mul_lo_u16_e32 v1, 7, v22
	v_sub_u16_e32 v23, v29, v1
	v_lshlrev_b16_e32 v1, 1, v23
	v_and_b32_e32 v4, 0xfe, v1
	v_add_u16_e32 v1, 21, v29
	v_mul_lo_u16_sdwa v0, v1, v0 dst_sel:DWORD dst_unused:UNUSED_PAD src0_sel:BYTE_0 src1_sel:DWORD
	v_sub_u16_sdwa v2, v1, v0 dst_sel:DWORD dst_unused:UNUSED_PAD src0_sel:DWORD src1_sel:BYTE_1
	v_lshrrev_b16_e32 v2, 1, v2
	v_and_b32_e32 v2, 0x7f, v2
	v_add_u16_sdwa v0, v2, v0 dst_sel:DWORD dst_unused:UNUSED_PAD src0_sel:DWORD src1_sel:BYTE_1
	v_lshrrev_b16_e32 v27, 2, v0
	v_mul_lo_u16_e32 v0, 7, v27
	v_sub_u16_e32 v46, v1, v0
	v_mov_b32_e32 v0, 4
	v_lshlrev_b32_sdwa v0, v0, v46 dst_sel:DWORD dst_unused:UNUSED_PAD src0_sel:DWORD src1_sel:BYTE_0
	v_lshlrev_b32_e32 v4, 3, v4
	global_load_dwordx4 v[0:3], v0, s[10:11]
	v_mad_legacy_u16 v22, v22, 21, v23
	global_load_dwordx4 v[4:7], v4, s[10:11]
	v_and_b32_e32 v22, 0xff, v22
	v_add_lshl_u32 v48, v26, v22, 3
	s_load_dwordx4 s[4:7], s[4:5], 0x0
	s_mov_b32 s14, 0x3f5db3d7
	v_mul_u32_u24_e32 v49, 21, v27
	s_waitcnt lgkmcnt(0)
	s_barrier
	s_waitcnt vmcnt(1)
	v_pk_mul_f32 v[24:25], v[14:15], v[0:1] op_sel_hi:[0,1]
	v_pk_mul_f32 v[30:31], v[16:17], v[2:3] op_sel_hi:[0,1]
	s_waitcnt vmcnt(0)
	v_pk_mul_f32 v[32:33], v[10:11], v[4:5] op_sel:[0,1]
	v_mov_b32_e32 v34, v7
	v_pk_fma_f32 v[22:23], v[16:17], v[0:1], v[24:25] op_sel:[1,0,1] op_sel_hi:[1,1,0] neg_lo:[0,0,1] neg_hi:[0,0,1]
	v_pk_fma_f32 v[16:17], v[16:17], v[0:1], v[24:25] op_sel:[1,0,1] op_sel_hi:[1,1,0]
	v_pk_fma_f32 v[24:25], v[14:15], v[2:3], v[30:31] op_sel:[1,0,1] op_sel_hi:[1,1,0] neg_lo:[0,0,1] neg_hi:[0,0,1]
	v_pk_fma_f32 v[14:15], v[14:15], v[2:3], v[30:31] op_sel:[1,0,1] op_sel_hi:[1,1,0]
	;; [unrolled: 2-line block ×3, first 2 shown]
	v_pk_mul_f32 v[32:33], v[20:21], v[34:35] op_sel_hi:[1,0]
	v_mov_b32_e32 v23, v17
	v_mov_b32_e32 v25, v15
	;; [unrolled: 1-line block ×3, first 2 shown]
	v_pk_fma_f32 v[10:11], v[20:21], v[6:7], v[32:33] op_sel:[0,0,1] op_sel_hi:[1,1,0] neg_lo:[0,0,1] neg_hi:[0,0,1]
	v_pk_fma_f32 v[14:15], v[20:21], v[6:7], v[32:33] op_sel:[0,0,1] op_sel_hi:[1,0,0]
	v_pk_add_f32 v[16:17], v[22:23], v[24:25]
	v_pk_add_f32 v[20:21], v[22:23], v[24:25] neg_lo:[0,1] neg_hi:[0,1]
	v_mov_b32_e32 v11, v15
	v_pk_add_f32 v[14:15], v[8:9], v[30:31]
	v_pk_fma_f32 v[16:17], v[16:17], 0.5, v[12:13] op_sel_hi:[1,0,1] neg_lo:[1,0,0] neg_hi:[1,0,0]
	v_pk_mul_f32 v[20:21], v[20:21], s[14:15] op_sel_hi:[1,0]
	v_pk_add_f32 v[34:35], v[30:31], v[10:11]
	v_pk_add_f32 v[30:31], v[30:31], v[10:11] neg_lo:[0,1] neg_hi:[0,1]
	v_pk_add_f32 v[32:33], v[14:15], v[10:11]
	v_pk_add_f32 v[10:11], v[16:17], v[20:21] op_sel:[0,1] op_sel_hi:[1,0] neg_lo:[0,1] neg_hi:[0,1]
	v_pk_add_f32 v[14:15], v[16:17], v[20:21] op_sel:[0,1] op_sel_hi:[1,0]
	v_pk_fma_f32 v[8:9], v[34:35], 0.5, v[8:9] op_sel_hi:[1,0,1] neg_lo:[1,0,0] neg_hi:[1,0,0]
	v_pk_mul_f32 v[20:21], v[30:31], s[14:15] op_sel_hi:[1,0]
	v_mov_b32_e32 v16, v10
	v_pk_add_f32 v[30:31], v[8:9], v[20:21] op_sel:[0,1] op_sel_hi:[1,0]
	v_pk_add_f32 v[8:9], v[8:9], v[20:21] op_sel:[0,1] op_sel_hi:[1,0] neg_lo:[0,1] neg_hi:[0,1]
	v_mov_b32_e32 v17, v15
	v_mov_b32_e32 v20, v30
	;; [unrolled: 1-line block ×4, first 2 shown]
	ds_write2_b64 v48, v[32:33], v[20:21] offset1:7
	ds_write_b64 v48, v[8:9] offset:112
	s_and_saveexec_b64 s[14:15], s[0:1]
	s_cbranch_execz .LBB0_11
; %bb.10:
	v_add_u32_sdwa v8, v49, v46 dst_sel:DWORD dst_unused:UNUSED_PAD src0_sel:DWORD src1_sel:BYTE_0
	v_add_lshl_u32 v10, v26, v8, 3
	v_pk_add_f32 v[8:9], v[12:13], v[22:23]
	v_mov_b32_e32 v15, v11
	v_pk_add_f32 v[8:9], v[8:9], v[24:25]
	ds_write2_b64 v10, v[8:9], v[14:15] offset1:7
	ds_write_b64 v10, v[16:17] offset:112
.LBB0_11:
	s_or_b64 exec, exec, s[14:15]
	v_lshlrev_b32_e32 v20, 5, v29
	s_waitcnt lgkmcnt(0)
	s_barrier
	global_load_dwordx4 v[8:11], v20, s[10:11] offset:128
	global_load_dwordx4 v[12:15], v20, s[10:11] offset:112
	ds_read2_b64 v[20:23], v45 offset0:63 offset1:84
	ds_read_b64 v[30:31], v45
	ds_read2_b64 v[24:27], v45 offset0:21 offset1:42
	s_mov_b32 s10, 0x3f737871
	s_mov_b32 s14, 0x3f167918
	;; [unrolled: 1-line block ×3, first 2 shown]
	v_lshl_add_u32 v44, v29, 3, v43
	s_waitcnt vmcnt(1)
	v_mov_b32_e32 v32, v11
	s_waitcnt vmcnt(0) lgkmcnt(0)
	v_pk_mul_f32 v[34:35], v[24:25], v[12:13] op_sel:[0,1]
	v_pk_mul_f32 v[36:37], v[26:27], v[14:15] op_sel_hi:[1,0]
	v_mov_b32_e32 v38, v15
	v_mov_b32_e32 v40, v15
	v_pk_mul_f32 v[50:51], v[20:21], v[8:9] op_sel_hi:[1,0]
	v_mov_b32_e32 v52, v9
	v_pk_mul_f32 v[32:33], v[22:23], v[32:33] op_sel_hi:[1,0]
	v_pk_fma_f32 v[54:55], v[24:25], v[12:13], v[34:35] op_sel:[0,0,1] op_sel_hi:[1,1,0] neg_lo:[0,0,1] neg_hi:[0,0,1]
	v_pk_fma_f32 v[24:25], v[24:25], v[12:13], v[34:35] op_sel:[0,0,1] op_sel_hi:[1,0,0]
	v_pk_fma_f32 v[34:35], v[26:27], v[38:39], v[36:37] op_sel:[0,0,1] op_sel_hi:[1,1,0]
	v_pk_fma_f32 v[26:27], v[26:27], v[40:41], v[36:37] op_sel:[0,0,1] op_sel_hi:[1,0,0] neg_lo:[1,0,0] neg_hi:[1,0,0]
	v_pk_fma_f32 v[36:37], v[20:21], v[52:53], v[50:51] op_sel:[0,0,1] op_sel_hi:[1,1,0]
	v_pk_fma_f32 v[20:21], v[20:21], v[8:9], v[50:51] op_sel:[0,1,1] op_sel_hi:[1,1,0] neg_lo:[1,0,0] neg_hi:[1,0,0]
	v_pk_fma_f32 v[38:39], v[22:23], v[10:11], v[32:33] op_sel:[0,0,1] op_sel_hi:[1,1,0] neg_lo:[0,0,1] neg_hi:[0,0,1]
	v_pk_fma_f32 v[22:23], v[22:23], v[10:11], v[32:33] op_sel:[0,0,1] op_sel_hi:[1,0,0]
	v_mov_b32_e32 v55, v25
	v_mov_b32_e32 v35, v27
	;; [unrolled: 1-line block ×8, first 2 shown]
	v_pk_add_f32 v[22:23], v[34:35], v[36:37] neg_lo:[0,1] neg_hi:[0,1]
	v_pk_add_f32 v[26:27], v[30:31], v[54:55]
	v_pk_add_f32 v[34:35], v[34:35], v[36:37]
	v_pk_add_f32 v[32:33], v[54:55], v[24:25] neg_lo:[0,1] neg_hi:[0,1]
	v_pk_add_f32 v[36:37], v[24:25], v[54:55] neg_lo:[0,1] neg_hi:[0,1]
	;; [unrolled: 1-line block ×3, first 2 shown]
	v_pk_add_f32 v[50:51], v[54:55], v[38:39]
	v_pk_add_f32 v[24:25], v[26:27], v[24:25]
	v_pk_add_f32 v[26:27], v[38:39], v[20:21] neg_lo:[0,1] neg_hi:[0,1]
	v_pk_mul_f32 v[34:35], v[34:35], 0.5 op_sel_hi:[1,0]
	v_pk_add_f32 v[52:53], v[20:21], v[38:39] neg_lo:[0,1] neg_hi:[0,1]
	v_pk_fma_f32 v[50:51], v[50:51], 0.5, v[30:31] op_sel_hi:[1,0,1] neg_lo:[1,0,0] neg_hi:[1,0,0]
	v_pk_add_f32 v[20:21], v[24:25], v[20:21]
	v_pk_add_f32 v[24:25], v[32:33], v[26:27]
	v_pk_add_f32 v[26:27], v[30:31], v[34:35] op_sel:[0,1] op_sel_hi:[1,0] neg_lo:[0,1] neg_hi:[0,1]
	v_pk_mul_f32 v[32:33], v[40:41], s[10:11] op_sel_hi:[1,0]
	v_pk_mul_f32 v[54:55], v[40:41], s[14:15] op_sel_hi:[1,0]
	v_pk_add_f32 v[34:35], v[36:37], v[52:53]
	v_pk_fma_f32 v[36:37], v[22:23], s[10:11], v[50:51] op_sel_hi:[1,0,1] neg_lo:[1,0,0] neg_hi:[1,0,0]
	v_pk_add_f32 v[30:31], v[20:21], v[38:39]
	v_pk_add_f32 v[20:21], v[26:27], v[32:33] op_sel:[0,1] op_sel_hi:[1,0]
	v_pk_add_f32 v[26:27], v[26:27], v[32:33] op_sel:[0,1] op_sel_hi:[1,0] neg_lo:[0,1] neg_hi:[0,1]
	v_pk_fma_f32 v[32:33], v[22:23], s[10:11], v[50:51] op_sel_hi:[1,0,1]
	v_pk_add_f32 v[36:37], v[54:55], v[36:37] op_sel:[1,0] op_sel_hi:[0,1]
	v_pk_fma_f32 v[26:27], v[22:23], s[14:15], v[26:27] op_sel_hi:[1,0,1] neg_lo:[1,0,0] neg_hi:[1,0,0]
	v_pk_fma_f32 v[20:21], v[22:23], s[14:15], v[20:21] op_sel_hi:[1,0,1]
	v_pk_add_f32 v[32:33], v[32:33], v[54:55] op_sel:[0,1] op_sel_hi:[1,0] neg_lo:[0,1] neg_hi:[0,1]
	v_mov_b32_e32 v22, v20
	v_mov_b32_e32 v23, v27
	;; [unrolled: 1-line block ×6, first 2 shown]
	v_pk_fma_f32 v[20:21], v[24:25], s[16:17], v[22:23] op_sel_hi:[1,0,1]
	v_pk_fma_f32 v[26:27], v[24:25], s[16:17], v[26:27] op_sel_hi:[1,0,1]
	;; [unrolled: 1-line block ×4, first 2 shown]
	ds_write_b64 v44, v[30:31]
	ds_write2_b64 v44, v[20:21], v[22:23] offset0:21 offset1:42
	ds_write2_b64 v44, v[24:25], v[26:27] offset0:63 offset1:84
	s_waitcnt lgkmcnt(0)
	s_barrier
	s_and_saveexec_b64 s[10:11], vcc
	s_cbranch_execz .LBB0_13
; %bb.12:
	global_load_dwordx2 v[32:33], v42, s[8:9] offset:840
	s_add_u32 s14, s8, 0x348
	s_addc_u32 s15, s9, 0
	global_load_dwordx2 v[40:41], v42, s[14:15] offset:120
	global_load_dwordx2 v[54:55], v42, s[14:15] offset:240
	;; [unrolled: 1-line block ×6, first 2 shown]
	ds_read_b64 v[34:35], v44
	s_waitcnt vmcnt(6) lgkmcnt(0)
	v_mul_f32_e32 v36, v35, v33
	v_mul_f32_e32 v37, v34, v33
	v_fma_f32 v36, v34, v32, -v36
	v_fmac_f32_e32 v37, v35, v32
	ds_write_b64 v44, v[36:37]
	ds_read2_b64 v[32:35], v44 offset0:15 offset1:30
	ds_read2_b64 v[36:39], v44 offset0:45 offset1:60
	ds_read2_b64 v[50:53], v44 offset0:75 offset1:90
	s_waitcnt vmcnt(5) lgkmcnt(2)
	v_mul_f32_e32 v64, v33, v41
	v_mul_f32_e32 v65, v32, v41
	s_waitcnt vmcnt(4)
	v_mul_f32_e32 v66, v35, v55
	v_mul_f32_e32 v41, v34, v55
	s_waitcnt vmcnt(3) lgkmcnt(1)
	v_mul_f32_e32 v67, v37, v57
	v_mul_f32_e32 v55, v36, v57
	s_waitcnt vmcnt(2)
	v_mul_f32_e32 v68, v39, v59
	v_mul_f32_e32 v57, v38, v59
	;; [unrolled: 6-line block ×3, first 2 shown]
	v_fma_f32 v64, v32, v40, -v64
	v_fmac_f32_e32 v65, v33, v40
	v_fma_f32 v40, v34, v54, -v66
	v_fmac_f32_e32 v41, v35, v54
	;; [unrolled: 2-line block ×6, first 2 shown]
	ds_write2_b64 v44, v[64:65], v[40:41] offset0:15 offset1:30
	ds_write2_b64 v44, v[54:55], v[56:57] offset0:45 offset1:60
	;; [unrolled: 1-line block ×3, first 2 shown]
.LBB0_13:
	s_or_b64 exec, exec, s[10:11]
	s_waitcnt lgkmcnt(0)
	s_barrier
	s_and_saveexec_b64 s[10:11], vcc
	s_cbranch_execz .LBB0_15
; %bb.14:
	ds_read_b64 v[30:31], v44
	ds_read2_b64 v[20:23], v44 offset0:15 offset1:30
	ds_read2_b64 v[24:27], v44 offset0:45 offset1:60
	;; [unrolled: 1-line block ×3, first 2 shown]
.LBB0_15:
	s_or_b64 exec, exec, s[10:11]
	s_waitcnt lgkmcnt(0)
	v_pk_add_f32 v[32:33], v[18:19], v[20:21]
	v_pk_add_f32 v[34:35], v[16:17], v[22:23]
	v_pk_add_f32 v[20:21], v[20:21], v[18:19] neg_lo:[0,1] neg_hi:[0,1]
	v_pk_add_f32 v[16:17], v[22:23], v[16:17] neg_lo:[0,1] neg_hi:[0,1]
	v_pk_add_f32 v[22:23], v[24:25], v[26:27]
	v_pk_add_f32 v[24:25], v[26:27], v[24:25] neg_lo:[0,1] neg_hi:[0,1]
	v_pk_add_f32 v[36:37], v[34:35], v[32:33]
	v_pk_add_f32 v[18:19], v[32:33], v[22:23] neg_lo:[0,1] neg_hi:[0,1]
	v_pk_add_f32 v[26:27], v[20:21], v[24:25] op_sel:[1,1] op_sel_hi:[0,0] neg_lo:[0,1] neg_hi:[0,1]
	v_pk_add_f32 v[38:39], v[34:35], v[32:33] neg_lo:[0,1] neg_hi:[0,1]
	v_pk_add_f32 v[34:35], v[22:23], v[34:35] neg_lo:[0,1] neg_hi:[0,1]
	v_pk_add_f32 v[32:33], v[24:25], v[16:17] op_sel:[1,1] op_sel_hi:[0,0]
	v_pk_add_f32 v[24:25], v[24:25], v[16:17] op_sel:[1,1] op_sel_hi:[0,0] neg_lo:[0,1] neg_hi:[0,1]
	v_pk_add_f32 v[22:23], v[22:23], v[36:37]
	s_mov_b32 s16, 0x3d64c772
	s_mov_b32 s20, 0x3f08b237
	;; [unrolled: 1-line block ×3, first 2 shown]
	v_pk_add_f32 v[40:41], v[16:17], v[20:21] op_sel:[1,1] op_sel_hi:[0,0] neg_lo:[0,1] neg_hi:[0,1]
	v_pk_add_f32 v[16:17], v[30:31], v[22:23]
	s_mov_b32 s14, 0xbf955555
	v_pk_mul_f32 v[30:31], v[34:35], s[16:17] op_sel_hi:[1,0]
	s_mov_b32 s18, 0x3f3bfb3b
	v_pk_mul_f32 v[34:35], v[24:25], s[20:21] op_sel_hi:[1,0]
	;; [unrolled: 2-line block ×3, first 2 shown]
	s_mov_b32 s10, 0xbeae86e6
	v_pk_add_f32 v[32:33], v[32:33], v[20:21] op_sel:[0,1] op_sel_hi:[1,0]
	s_mov_b32 s16, 0xbee1c552
	v_pk_mul_f32 v[20:21], v[40:41], s[20:21] op_sel_hi:[1,0]
	v_pk_fma_f32 v[36:37], v[22:23], s[14:15], v[16:17] op_sel_hi:[1,0,1]
	v_pk_fma_f32 v[22:23], v[38:39], s[18:19], v[30:31] op_sel_hi:[1,0,1] neg_lo:[0,0,1] neg_hi:[0,0,1]
	v_pk_fma_f32 v[24:25], v[40:41], s[20:21], v[34:35] op_sel_hi:[1,0,1] neg_lo:[0,0,1] neg_hi:[0,0,1]
	v_pk_add_f32 v[50:51], v[22:23], v[36:37]
	v_pk_fma_f32 v[24:25], v[32:33], s[16:17], v[24:25] op_sel_hi:[1,0,1]
	v_pk_fma_f32 v[22:23], v[38:39], s[18:19], v[18:19] op_sel_hi:[1,0,1] neg_lo:[1,0,1] neg_hi:[1,0,1]
	v_pk_fma_f32 v[20:21], v[26:27], s[10:11], v[20:21] op_sel_hi:[1,0,1] neg_lo:[1,0,1] neg_hi:[1,0,1]
	v_pk_add_f32 v[38:39], v[22:23], v[36:37]
	v_pk_fma_f32 v[40:41], v[32:33], s[16:17], v[20:21] op_sel_hi:[1,0,1]
	v_pk_add_f32 v[20:21], v[50:51], v[24:25] neg_lo:[0,1] neg_hi:[0,1]
	v_pk_add_f32 v[22:23], v[50:51], v[24:25]
	v_mov_b32_e32 v52, v25
	v_mov_b32_e32 v21, v23
	;; [unrolled: 1-line block ×5, first 2 shown]
	v_pk_add_f32 v[22:23], v[22:23], v[52:53] neg_lo:[0,1] neg_hi:[0,1]
	v_mov_b32_e32 v52, v41
	v_mov_b32_e32 v53, v24
	;; [unrolled: 1-line block ×4, first 2 shown]
	v_pk_add_f32 v[24:25], v[52:53], v[24:25]
	s_barrier
	s_and_saveexec_b64 s[14:15], vcc
	s_cbranch_execz .LBB0_17
; %bb.16:
	v_pk_mul_f32 v[26:27], v[26:27], s[10:11] op_sel_hi:[1,0]
	v_pk_mul_f32 v[32:33], v[32:33], s[16:17] op_sel_hi:[1,0]
	v_pk_add_f32 v[18:19], v[30:31], v[18:19]
	v_pk_add_f32 v[26:27], v[34:35], v[26:27]
	v_pk_add_f32 v[18:19], v[18:19], v[36:37]
	v_pk_add_f32 v[26:27], v[32:33], v[26:27]
	v_pk_add_f32 v[50:51], v[38:39], v[40:41]
	v_pk_add_f32 v[38:39], v[38:39], v[40:41] neg_lo:[0,1] neg_hi:[0,1]
	v_pk_add_f32 v[30:31], v[18:19], v[26:27]
	v_pk_add_f32 v[18:19], v[18:19], v[26:27] neg_lo:[0,1] neg_hi:[0,1]
	v_lshl_add_u32 v38, v47, 3, v43
	v_mov_b32_e32 v26, v30
	v_mov_b32_e32 v27, v19
	ds_write2_b64 v38, v[16:17], v[26:27] offset1:1
	v_mov_b32_e32 v51, v39
	v_mov_b32_e32 v16, v25
	;; [unrolled: 1-line block ×6, first 2 shown]
	ds_write2_b64 v38, v[50:51], v[20:21] offset0:2 offset1:3
	ds_write2_b64 v38, v[16:17], v[26:27] offset0:4 offset1:5
	ds_write_b64 v38, v[18:19] offset:48
.LBB0_17:
	s_or_b64 exec, exec, s[14:15]
	s_waitcnt lgkmcnt(0)
	s_barrier
	ds_read2_b64 v[16:19], v45 offset1:35
	ds_read_b64 v[30:31], v45 offset:560
	s_and_saveexec_b64 s[10:11], s[2:3]
	s_xor_b64 s[2:3], exec, s[10:11]
	s_or_saveexec_b64 s[2:3], s[2:3]
	v_mov_b32_e32 v40, v4
	v_mov_b32_e32 v41, v4
	;; [unrolled: 1-line block ×6, first 2 shown]
	s_xor_b64 exec, exec, s[2:3]
	s_cbranch_execz .LBB0_19
; %bb.18:
	ds_read2_b64 v[32:35], v45 offset0:56 offset1:91
	ds_read_b64 v[20:21], v45 offset:168
	s_waitcnt lgkmcnt(1)
	v_mov_b32_e32 v24, v35
	v_mov_b32_e32 v25, v32
	;; [unrolled: 1-line block ×4, first 2 shown]
.LBB0_19:
	s_or_b64 exec, exec, s[2:3]
	s_waitcnt lgkmcnt(1)
	v_pk_mul_f32 v[4:5], v[4:5], v[18:19]
	s_waitcnt lgkmcnt(0)
	v_pk_mul_f32 v[6:7], v[6:7], v[30:31]
	v_pk_fma_f32 v[50:51], v[40:41], v[18:19], v[4:5] op_sel:[0,0,1] op_sel_hi:[1,1,0]
	v_pk_fma_f32 v[4:5], v[40:41], v[18:19], v[4:5] op_sel:[0,0,1] op_sel_hi:[1,1,0] neg_lo:[0,0,1] neg_hi:[0,0,1]
	s_mov_b32 s2, 0x3f5db3d7
	v_mov_b32_e32 v51, v5
	v_pk_fma_f32 v[4:5], v[38:39], v[30:31], v[6:7] op_sel:[0,0,1] op_sel_hi:[1,1,0]
	v_pk_fma_f32 v[6:7], v[38:39], v[30:31], v[6:7] op_sel:[0,0,1] op_sel_hi:[1,1,0] neg_lo:[0,0,1] neg_hi:[0,0,1]
	v_mov_b32_e32 v26, v10
	v_mov_b32_e32 v5, v7
	v_pk_add_f32 v[6:7], v[16:17], v[50:51]
	v_pk_add_f32 v[18:19], v[50:51], v[4:5]
	;; [unrolled: 1-line block ×3, first 2 shown]
	v_pk_add_f32 v[4:5], v[50:51], v[4:5] neg_lo:[0,1] neg_hi:[0,1]
	v_pk_fma_f32 v[16:17], -0.5, v[18:19], v[16:17] op_sel_hi:[0,1,1]
	v_pk_mul_f32 v[4:5], v[4:5], s[2:3] op_sel_hi:[1,0]
	v_mov_b32_e32 v27, v10
	v_pk_add_f32 v[18:19], v[16:17], v[4:5] op_sel:[0,1] op_sel_hi:[1,0] neg_lo:[0,1] neg_hi:[0,1]
	v_pk_add_f32 v[4:5], v[16:17], v[4:5] op_sel:[0,1] op_sel_hi:[1,0]
	v_mov_b32_e32 v10, v11
	v_mov_b32_e32 v36, v12
	;; [unrolled: 1-line block ×13, first 2 shown]
	s_barrier
	ds_write2_b64 v48, v[6:7], v[16:17] offset1:7
	ds_write_b64 v48, v[4:5] offset:112
	s_and_saveexec_b64 s[10:11], s[0:1]
	s_cbranch_execz .LBB0_21
; %bb.20:
	v_pk_mul_f32 v[4:5], v[0:1], v[22:23] op_sel_hi:[1,0]
	v_add_u32_sdwa v16, v49, v46 dst_sel:DWORD dst_unused:UNUSED_PAD src0_sel:DWORD src1_sel:BYTE_0
	v_pk_mul_f32 v[6:7], v[2:3], v[24:25] op_sel_hi:[1,0]
	v_lshl_add_u32 v18, v16, 3, v43
	v_pk_fma_f32 v[16:17], v[0:1], v[24:25], v[4:5] op_sel:[0,1,1] op_sel_hi:[1,1,0]
	v_pk_fma_f32 v[0:1], v[0:1], v[24:25], v[4:5] op_sel:[0,1,1] op_sel_hi:[1,1,0] neg_lo:[1,0,0] neg_hi:[1,0,0]
	s_nop 0
	v_mov_b32_e32 v17, v1
	v_pk_fma_f32 v[0:1], v[2:3], v[22:23], v[6:7] op_sel:[0,1,1] op_sel_hi:[1,1,0]
	v_pk_fma_f32 v[2:3], v[2:3], v[22:23], v[6:7] op_sel:[0,1,1] op_sel_hi:[1,1,0] neg_lo:[1,0,0] neg_hi:[1,0,0]
	s_nop 0
	v_mov_b32_e32 v1, v3
	v_pk_add_f32 v[2:3], v[20:21], v[16:17]
	v_pk_add_f32 v[4:5], v[0:1], v[16:17]
	;; [unrolled: 1-line block ×3, first 2 shown]
	v_pk_add_f32 v[0:1], v[16:17], v[0:1] neg_lo:[0,1] neg_hi:[0,1]
	v_pk_fma_f32 v[4:5], -0.5, v[4:5], v[20:21] op_sel_hi:[0,1,1]
	v_pk_mul_f32 v[0:1], v[0:1], s[2:3] op_sel_hi:[1,0]
	s_nop 0
	v_pk_add_f32 v[6:7], v[4:5], v[0:1] op_sel:[0,1] op_sel_hi:[1,0] neg_lo:[0,1] neg_hi:[0,1]
	v_pk_add_f32 v[0:1], v[4:5], v[0:1] op_sel:[0,1] op_sel_hi:[1,0]
	v_mov_b32_e32 v4, v6
	v_mov_b32_e32 v5, v1
	;; [unrolled: 1-line block ×3, first 2 shown]
	ds_write2_b64 v18, v[2:3], v[4:5] offset1:7
	ds_write_b64 v18, v[0:1] offset:112
.LBB0_21:
	s_or_b64 exec, exec, s[10:11]
	s_waitcnt lgkmcnt(0)
	s_barrier
	ds_read2_b64 v[0:3], v45 offset0:21 offset1:42
	ds_read_b64 v[16:17], v45
	ds_read2_b64 v[4:7], v45 offset0:63 offset1:84
	s_mov_b32 s0, 0x3f737871
	s_mov_b32 s2, 0x3f167918
	s_waitcnt lgkmcnt(2)
	v_pk_mul_f32 v[12:13], v[12:13], v[0:1]
	s_mov_b32 s10, 0x3e9e377a
	v_pk_fma_f32 v[18:19], v[36:37], v[0:1], v[12:13] op_sel:[0,0,1] op_sel_hi:[1,1,0]
	v_pk_fma_f32 v[0:1], v[36:37], v[0:1], v[12:13] op_sel:[0,0,1] op_sel_hi:[1,1,0] neg_lo:[0,0,1] neg_hi:[0,0,1]
	s_nop 0
	v_mov_b32_e32 v19, v1
	v_pk_mul_f32 v[0:1], v[14:15], v[2:3]
	s_nop 0
	v_pk_fma_f32 v[12:13], v[34:35], v[2:3], v[0:1] op_sel:[0,0,1] op_sel_hi:[1,1,0]
	v_pk_fma_f32 v[0:1], v[34:35], v[2:3], v[0:1] op_sel:[0,0,1] op_sel_hi:[1,1,0] neg_lo:[0,0,1] neg_hi:[0,0,1]
	s_nop 0
	v_mov_b32_e32 v13, v1
	s_waitcnt lgkmcnt(0)
	v_pk_mul_f32 v[0:1], v[8:9], v[4:5]
	v_pk_add_f32 v[20:21], v[18:19], v[12:13] neg_lo:[0,1] neg_hi:[0,1]
	v_pk_fma_f32 v[2:3], v[32:33], v[4:5], v[0:1] op_sel:[0,0,1] op_sel_hi:[1,1,0]
	v_pk_fma_f32 v[0:1], v[32:33], v[4:5], v[0:1] op_sel:[0,0,1] op_sel_hi:[1,1,0] neg_lo:[0,0,1] neg_hi:[0,0,1]
	s_nop 0
	v_mov_b32_e32 v3, v1
	v_pk_mul_f32 v[0:1], v[10:11], v[6:7]
	v_pk_add_f32 v[10:11], v[12:13], v[2:3] neg_lo:[0,1] neg_hi:[0,1]
	v_pk_fma_f32 v[4:5], v[26:27], v[6:7], v[0:1] op_sel:[0,0,1] op_sel_hi:[1,1,0]
	v_pk_fma_f32 v[0:1], v[26:27], v[6:7], v[0:1] op_sel:[0,0,1] op_sel_hi:[1,1,0] neg_lo:[0,0,1] neg_hi:[0,0,1]
	v_pk_mul_f32 v[14:15], v[10:11], s[2:3] op_sel_hi:[1,0]
	v_mov_b32_e32 v5, v1
	v_pk_add_f32 v[0:1], v[16:17], v[18:19]
	v_pk_add_f32 v[6:7], v[18:19], v[4:5] neg_lo:[0,1] neg_hi:[0,1]
	v_pk_add_f32 v[0:1], v[0:1], v[12:13]
	v_pk_mul_f32 v[8:9], v[6:7], s[0:1] op_sel_hi:[1,0]
	v_pk_add_f32 v[0:1], v[0:1], v[2:3]
	v_pk_add_f32 v[22:23], v[4:5], v[2:3] neg_lo:[0,1] neg_hi:[0,1]
	v_pk_add_f32 v[0:1], v[0:1], v[4:5]
	ds_write_b64 v44, v[0:1]
	v_pk_add_f32 v[0:1], v[12:13], v[2:3]
	v_pk_add_f32 v[20:21], v[20:21], v[22:23]
	v_pk_fma_f32 v[0:1], v[0:1], 0.5, v[16:17] op_sel_hi:[1,0,1] neg_lo:[1,0,0] neg_hi:[1,0,0]
	v_pk_add_f32 v[2:3], v[2:3], v[4:5] neg_lo:[0,1] neg_hi:[0,1]
	v_pk_add_f32 v[22:23], v[0:1], v[8:9] op_sel:[0,1] op_sel_hi:[1,0] neg_lo:[0,1] neg_hi:[0,1]
	v_pk_add_f32 v[0:1], v[0:1], v[8:9] op_sel:[0,1] op_sel_hi:[1,0]
	v_pk_add_f32 v[8:9], v[22:23], v[14:15] op_sel:[0,1] op_sel_hi:[1,0] neg_lo:[0,1] neg_hi:[0,1]
	v_pk_add_f32 v[22:23], v[18:19], v[4:5]
	v_pk_mul_f32 v[4:5], v[10:11], s[0:1] op_sel_hi:[1,0]
	v_pk_fma_f32 v[16:17], v[22:23], 0.5, v[16:17] op_sel_hi:[1,0,1] neg_lo:[1,0,0] neg_hi:[1,0,0]
	v_pk_mul_f32 v[6:7], v[6:7], s[2:3] op_sel_hi:[1,0]
	v_pk_add_f32 v[10:11], v[16:17], v[4:5] op_sel:[0,1] op_sel_hi:[1,0]
	v_pk_add_f32 v[4:5], v[16:17], v[4:5] op_sel:[0,1] op_sel_hi:[1,0] neg_lo:[0,1] neg_hi:[0,1]
	v_pk_add_f32 v[0:1], v[0:1], v[14:15] op_sel:[0,1] op_sel_hi:[1,0]
	v_pk_add_f32 v[12:13], v[12:13], v[18:19] neg_lo:[0,1] neg_hi:[0,1]
	v_pk_add_f32 v[4:5], v[4:5], v[6:7] op_sel:[0,1] op_sel_hi:[1,0]
	v_pk_add_f32 v[6:7], v[10:11], v[6:7] op_sel:[0,1] op_sel_hi:[1,0] neg_lo:[0,1] neg_hi:[0,1]
	v_mov_b32_e32 v14, v8
	v_mov_b32_e32 v15, v1
	v_pk_add_f32 v[2:3], v[12:13], v[2:3]
	v_mov_b32_e32 v10, v6
	v_mov_b32_e32 v11, v5
	;; [unrolled: 1-line block ×4, first 2 shown]
	v_pk_fma_f32 v[14:15], v[20:21], s[10:11], v[14:15] op_sel_hi:[1,0,1]
	v_pk_fma_f32 v[10:11], v[2:3], s[10:11], v[10:11] op_sel_hi:[1,0,1]
	;; [unrolled: 1-line block ×4, first 2 shown]
	ds_write2_b64 v44, v[14:15], v[10:11] offset0:21 offset1:42
	ds_write2_b64 v44, v[2:3], v[0:1] offset0:63 offset1:84
	s_waitcnt lgkmcnt(0)
	s_barrier
	s_and_b64 exec, exec, vcc
	s_cbranch_execz .LBB0_23
; %bb.22:
	global_load_dwordx2 v[8:9], v42, s[8:9]
	global_load_dwordx2 v[10:11], v42, s[8:9] offset:120
	global_load_dwordx2 v[12:13], v42, s[8:9] offset:240
	;; [unrolled: 1-line block ×4, first 2 shown]
	ds_read_b64 v[22:23], v44
	ds_read2_b64 v[0:3], v44 offset0:15 offset1:30
	ds_read2_b64 v[4:7], v44 offset0:45 offset1:60
	global_load_dwordx2 v[26:27], v42, s[8:9] offset:600
	global_load_dwordx2 v[30:31], v42, s[8:9] offset:720
	v_mad_u64_u32 v[20:21], s[0:1], s6, v28, 0
	v_mad_u64_u32 v[24:25], s[2:3], s4, v29, 0
	v_mov_b32_e32 v32, v21
	v_mov_b32_e32 v35, 0x78
	;; [unrolled: 1-line block ×3, first 2 shown]
	v_mad_u64_u32 v[32:33], s[2:3], s7, v28, v[32:33]
	v_mov_b32_e32 v18, s12
	v_mov_b32_e32 v19, s13
	v_mad_u64_u32 v[28:29], s[2:3], s5, v29, v[34:35]
	v_mov_b32_e32 v21, v32
	v_mov_b32_e32 v25, v28
	v_lshl_add_u64 v[18:19], v[20:21], 3, v[18:19]
	v_lshl_add_u64 v[18:19], v[24:25], 3, v[18:19]
	s_mul_i32 s6, s5, 0x78
	v_mad_u64_u32 v[20:21], s[2:3], s4, v35, v[18:19]
	s_mov_b32 s0, 0x13813814
	v_add_u32_e32 v21, s6, v21
	s_mov_b32 s1, 0x3f838138
	v_mad_u64_u32 v[24:25], s[2:3], s4, v35, v[20:21]
	v_add_u32_e32 v25, s6, v25
	v_mad_u64_u32 v[28:29], s[2:3], s4, v35, v[24:25]
	v_add_u32_e32 v29, s6, v29
	s_waitcnt vmcnt(6) lgkmcnt(2)
	v_mul_f32_e32 v32, v23, v9
	v_mul_f32_e32 v9, v22, v9
	s_waitcnt vmcnt(5) lgkmcnt(1)
	v_mul_f32_e32 v33, v1, v11
	v_mul_f32_e32 v11, v0, v11
	s_waitcnt vmcnt(4)
	v_mul_f32_e32 v34, v3, v13
	v_mul_f32_e32 v13, v2, v13
	s_waitcnt vmcnt(3) lgkmcnt(0)
	v_mul_f32_e32 v36, v5, v15
	v_mul_f32_e32 v15, v4, v15
	v_fmac_f32_e32 v32, v22, v8
	v_fma_f32 v8, v8, v23, -v9
	s_waitcnt vmcnt(2)
	v_mul_f32_e32 v37, v7, v17
	v_fmac_f32_e32 v33, v0, v10
	v_fma_f32 v9, v10, v1, -v11
	v_fmac_f32_e32 v34, v2, v12
	v_fma_f32 v12, v12, v3, -v13
	;; [unrolled: 2-line block ×3, first 2 shown]
	v_cvt_f64_f32_e32 v[0:1], v32
	v_cvt_f64_f32_e32 v[2:3], v8
	v_fmac_f32_e32 v37, v6, v16
	v_cvt_f64_f32_e32 v[4:5], v33
	v_cvt_f64_f32_e32 v[8:9], v9
	;; [unrolled: 1-line block ×6, first 2 shown]
	v_mul_f64 v[0:1], v[0:1], s[0:1]
	v_mul_f64 v[2:3], v[2:3], s[0:1]
	v_cvt_f64_f32_e32 v[32:33], v37
	v_mul_f64 v[4:5], v[4:5], s[0:1]
	v_mul_f64 v[8:9], v[8:9], s[0:1]
	;; [unrolled: 1-line block ×6, first 2 shown]
	v_cvt_f32_f64_e32 v0, v[0:1]
	v_cvt_f32_f64_e32 v1, v[2:3]
	;; [unrolled: 1-line block ×8, first 2 shown]
	global_store_dwordx2 v[18:19], v[0:1], off
	global_store_dwordx2 v[20:21], v[2:3], off
	;; [unrolled: 1-line block ×4, first 2 shown]
	v_mul_f64 v[0:1], v[32:33], s[0:1]
	v_cvt_f32_f64_e32 v4, v[0:1]
	v_mul_f32_e32 v0, v6, v17
	v_fma_f32 v0, v16, v7, -v0
	v_cvt_f64_f32_e32 v[0:1], v0
	v_mul_f64 v[0:1], v[0:1], s[0:1]
	v_cvt_f32_f64_e32 v5, v[0:1]
	ds_read2_b64 v[0:3], v44 offset0:75 offset1:90
	v_mad_u64_u32 v[6:7], s[2:3], s4, v35, v[28:29]
	v_add_u32_e32 v7, s6, v7
	global_store_dwordx2 v[6:7], v[4:5], off
	s_waitcnt vmcnt(6) lgkmcnt(0)
	v_mul_f32_e32 v4, v1, v27
	v_fmac_f32_e32 v4, v0, v26
	v_mul_f32_e32 v0, v0, v27
	v_fma_f32 v0, v26, v1, -v0
	v_cvt_f64_f32_e32 v[4:5], v4
	v_cvt_f64_f32_e32 v[0:1], v0
	v_mul_f64 v[4:5], v[4:5], s[0:1]
	v_mul_f64 v[0:1], v[0:1], s[0:1]
	v_cvt_f32_f64_e32 v4, v[4:5]
	v_cvt_f32_f64_e32 v5, v[0:1]
	v_mad_u64_u32 v[0:1], s[2:3], s4, v35, v[6:7]
	v_add_u32_e32 v1, s6, v1
	global_store_dwordx2 v[0:1], v[4:5], off
	s_waitcnt vmcnt(6)
	v_mul_f32_e32 v4, v3, v31
	v_fmac_f32_e32 v4, v2, v30
	v_mul_f32_e32 v2, v2, v31
	v_fma_f32 v2, v30, v3, -v2
	v_cvt_f64_f32_e32 v[4:5], v4
	v_cvt_f64_f32_e32 v[2:3], v2
	v_mul_f64 v[4:5], v[4:5], s[0:1]
	v_mul_f64 v[2:3], v[2:3], s[0:1]
	v_mad_u64_u32 v[0:1], s[0:1], s4, v35, v[0:1]
	v_cvt_f32_f64_e32 v4, v[4:5]
	v_cvt_f32_f64_e32 v5, v[2:3]
	v_add_u32_e32 v1, s6, v1
	global_store_dwordx2 v[0:1], v[4:5], off
.LBB0_23:
	s_endpgm
	.section	.rodata,"a",@progbits
	.p2align	6, 0x0
	.amdhsa_kernel bluestein_single_fwd_len105_dim1_sp_op_CI_CI
		.amdhsa_group_segment_fixed_size 10080
		.amdhsa_private_segment_fixed_size 0
		.amdhsa_kernarg_size 104
		.amdhsa_user_sgpr_count 2
		.amdhsa_user_sgpr_dispatch_ptr 0
		.amdhsa_user_sgpr_queue_ptr 0
		.amdhsa_user_sgpr_kernarg_segment_ptr 1
		.amdhsa_user_sgpr_dispatch_id 0
		.amdhsa_user_sgpr_kernarg_preload_length 0
		.amdhsa_user_sgpr_kernarg_preload_offset 0
		.amdhsa_user_sgpr_private_segment_size 0
		.amdhsa_uses_dynamic_stack 0
		.amdhsa_enable_private_segment 0
		.amdhsa_system_sgpr_workgroup_id_x 1
		.amdhsa_system_sgpr_workgroup_id_y 0
		.amdhsa_system_sgpr_workgroup_id_z 0
		.amdhsa_system_sgpr_workgroup_info 0
		.amdhsa_system_vgpr_workitem_id 0
		.amdhsa_next_free_vgpr 71
		.amdhsa_next_free_sgpr 22
		.amdhsa_accum_offset 72
		.amdhsa_reserve_vcc 1
		.amdhsa_float_round_mode_32 0
		.amdhsa_float_round_mode_16_64 0
		.amdhsa_float_denorm_mode_32 3
		.amdhsa_float_denorm_mode_16_64 3
		.amdhsa_dx10_clamp 1
		.amdhsa_ieee_mode 1
		.amdhsa_fp16_overflow 0
		.amdhsa_tg_split 0
		.amdhsa_exception_fp_ieee_invalid_op 0
		.amdhsa_exception_fp_denorm_src 0
		.amdhsa_exception_fp_ieee_div_zero 0
		.amdhsa_exception_fp_ieee_overflow 0
		.amdhsa_exception_fp_ieee_underflow 0
		.amdhsa_exception_fp_ieee_inexact 0
		.amdhsa_exception_int_div_zero 0
	.end_amdhsa_kernel
	.text
.Lfunc_end0:
	.size	bluestein_single_fwd_len105_dim1_sp_op_CI_CI, .Lfunc_end0-bluestein_single_fwd_len105_dim1_sp_op_CI_CI
                                        ; -- End function
	.section	.AMDGPU.csdata,"",@progbits
; Kernel info:
; codeLenInByte = 5116
; NumSgprs: 28
; NumVgprs: 71
; NumAgprs: 0
; TotalNumVgprs: 71
; ScratchSize: 0
; MemoryBound: 0
; FloatMode: 240
; IeeeMode: 1
; LDSByteSize: 10080 bytes/workgroup (compile time only)
; SGPRBlocks: 3
; VGPRBlocks: 8
; NumSGPRsForWavesPerEU: 28
; NumVGPRsForWavesPerEU: 71
; AccumOffset: 72
; Occupancy: 7
; WaveLimiterHint : 1
; COMPUTE_PGM_RSRC2:SCRATCH_EN: 0
; COMPUTE_PGM_RSRC2:USER_SGPR: 2
; COMPUTE_PGM_RSRC2:TRAP_HANDLER: 0
; COMPUTE_PGM_RSRC2:TGID_X_EN: 1
; COMPUTE_PGM_RSRC2:TGID_Y_EN: 0
; COMPUTE_PGM_RSRC2:TGID_Z_EN: 0
; COMPUTE_PGM_RSRC2:TIDIG_COMP_CNT: 0
; COMPUTE_PGM_RSRC3_GFX90A:ACCUM_OFFSET: 17
; COMPUTE_PGM_RSRC3_GFX90A:TG_SPLIT: 0
	.text
	.p2alignl 6, 3212836864
	.fill 256, 4, 3212836864
	.type	__hip_cuid_6e1522a23552b7aa,@object ; @__hip_cuid_6e1522a23552b7aa
	.section	.bss,"aw",@nobits
	.globl	__hip_cuid_6e1522a23552b7aa
__hip_cuid_6e1522a23552b7aa:
	.byte	0                               ; 0x0
	.size	__hip_cuid_6e1522a23552b7aa, 1

	.ident	"AMD clang version 19.0.0git (https://github.com/RadeonOpenCompute/llvm-project roc-6.4.0 25133 c7fe45cf4b819c5991fe208aaa96edf142730f1d)"
	.section	".note.GNU-stack","",@progbits
	.addrsig
	.addrsig_sym __hip_cuid_6e1522a23552b7aa
	.amdgpu_metadata
---
amdhsa.kernels:
  - .agpr_count:     0
    .args:
      - .actual_access:  read_only
        .address_space:  global
        .offset:         0
        .size:           8
        .value_kind:     global_buffer
      - .actual_access:  read_only
        .address_space:  global
        .offset:         8
        .size:           8
        .value_kind:     global_buffer
      - .actual_access:  read_only
        .address_space:  global
        .offset:         16
        .size:           8
        .value_kind:     global_buffer
      - .actual_access:  read_only
        .address_space:  global
        .offset:         24
        .size:           8
        .value_kind:     global_buffer
      - .actual_access:  read_only
        .address_space:  global
        .offset:         32
        .size:           8
        .value_kind:     global_buffer
      - .offset:         40
        .size:           8
        .value_kind:     by_value
      - .address_space:  global
        .offset:         48
        .size:           8
        .value_kind:     global_buffer
      - .address_space:  global
        .offset:         56
        .size:           8
        .value_kind:     global_buffer
      - .address_space:  global
        .offset:         64
        .size:           8
        .value_kind:     global_buffer
      - .address_space:  global
        .offset:         72
        .size:           8
        .value_kind:     global_buffer
      - .offset:         80
        .size:           4
        .value_kind:     by_value
      - .address_space:  global
        .offset:         88
        .size:           8
        .value_kind:     global_buffer
      - .address_space:  global
        .offset:         96
        .size:           8
        .value_kind:     global_buffer
    .group_segment_fixed_size: 10080
    .kernarg_segment_align: 8
    .kernarg_segment_size: 104
    .language:       OpenCL C
    .language_version:
      - 2
      - 0
    .max_flat_workgroup_size: 252
    .name:           bluestein_single_fwd_len105_dim1_sp_op_CI_CI
    .private_segment_fixed_size: 0
    .sgpr_count:     28
    .sgpr_spill_count: 0
    .symbol:         bluestein_single_fwd_len105_dim1_sp_op_CI_CI.kd
    .uniform_work_group_size: 1
    .uses_dynamic_stack: false
    .vgpr_count:     71
    .vgpr_spill_count: 0
    .wavefront_size: 64
amdhsa.target:   amdgcn-amd-amdhsa--gfx950
amdhsa.version:
  - 1
  - 2
...

	.end_amdgpu_metadata
